;; amdgpu-corpus repo=ROCm/rocFFT kind=compiled arch=gfx950 opt=O3
	.text
	.amdgcn_target "amdgcn-amd-amdhsa--gfx950"
	.amdhsa_code_object_version 6
	.protected	fft_rtc_fwd_len208_factors_13_16_wgs_144_tpt_16_dp_op_CI_CI_sbcc_dirReg_intrinsicReadWrite ; -- Begin function fft_rtc_fwd_len208_factors_13_16_wgs_144_tpt_16_dp_op_CI_CI_sbcc_dirReg_intrinsicReadWrite
	.globl	fft_rtc_fwd_len208_factors_13_16_wgs_144_tpt_16_dp_op_CI_CI_sbcc_dirReg_intrinsicReadWrite
	.p2align	8
	.type	fft_rtc_fwd_len208_factors_13_16_wgs_144_tpt_16_dp_op_CI_CI_sbcc_dirReg_intrinsicReadWrite,@function
fft_rtc_fwd_len208_factors_13_16_wgs_144_tpt_16_dp_op_CI_CI_sbcc_dirReg_intrinsicReadWrite: ; @fft_rtc_fwd_len208_factors_13_16_wgs_144_tpt_16_dp_op_CI_CI_sbcc_dirReg_intrinsicReadWrite
; %bb.0:
	s_load_dwordx4 s[16:19], s[0:1], 0x18
	s_load_dwordx2 s[26:27], s[0:1], 0x28
	s_mov_b32 s3, 0
	s_mov_b64 s[22:23], 0
	s_waitcnt lgkmcnt(0)
	s_load_dwordx2 s[24:25], s[16:17], 0x8
	s_waitcnt lgkmcnt(0)
	s_add_u32 s4, s24, -1
	s_addc_u32 s5, s25, -1
	s_add_u32 s6, 0, 0x71c4fc00
	s_addc_u32 s7, 0, 0x7c
	s_mul_hi_u32 s9, s6, -9
	s_add_i32 s7, s7, 0x1c71c6a0
	s_sub_i32 s9, s9, s6
	s_mul_i32 s12, s7, -9
	s_mul_i32 s8, s6, -9
	s_add_i32 s9, s9, s12
	s_mul_hi_u32 s10, s7, s8
	s_mul_i32 s11, s7, s8
	s_mul_i32 s13, s6, s9
	s_mul_hi_u32 s8, s6, s8
	s_mul_hi_u32 s12, s6, s9
	s_add_u32 s8, s8, s13
	s_addc_u32 s12, 0, s12
	s_add_u32 s8, s8, s11
	s_mul_hi_u32 s13, s7, s9
	s_addc_u32 s8, s12, s10
	s_addc_u32 s10, s13, 0
	s_mul_i32 s9, s7, s9
	s_add_u32 s8, s8, s9
	v_mov_b32_e32 v1, s8
	s_addc_u32 s9, 0, s10
	v_add_co_u32_e32 v1, vcc, s6, v1
	s_cmp_lg_u64 vcc, 0
	s_addc_u32 s6, s7, s9
	v_readfirstlane_b32 s9, v1
	s_mul_i32 s8, s4, s6
	s_mul_hi_u32 s10, s4, s9
	s_mul_hi_u32 s7, s4, s6
	s_add_u32 s8, s10, s8
	s_addc_u32 s7, 0, s7
	s_mul_hi_u32 s11, s5, s9
	s_mul_i32 s9, s5, s9
	s_add_u32 s8, s8, s9
	s_mul_hi_u32 s10, s5, s6
	s_addc_u32 s7, s7, s11
	s_addc_u32 s8, s10, 0
	s_mul_i32 s6, s5, s6
	s_add_u32 s6, s7, s6
	s_addc_u32 s7, 0, s8
	s_add_u32 s8, s6, 1
	s_addc_u32 s9, s7, 0
	s_add_u32 s10, s6, 2
	s_mul_i32 s12, s7, 9
	s_mul_hi_u32 s13, s6, 9
	s_addc_u32 s11, s7, 0
	s_add_i32 s13, s13, s12
	s_mul_i32 s12, s6, 9
	v_mov_b32_e32 v1, s12
	v_sub_co_u32_e32 v1, vcc, s4, v1
	s_cmp_lg_u64 vcc, 0
	s_subb_u32 s4, s5, s13
	v_subrev_co_u32_e32 v2, vcc, 9, v1
	s_cmp_lg_u64 vcc, 0
	s_subb_u32 s5, s4, 0
	v_readfirstlane_b32 s12, v2
	s_cmp_gt_u32 s12, 8
	s_cselect_b32 s12, -1, 0
	s_cmp_eq_u32 s5, 0
	s_cselect_b32 s5, s12, -1
	s_cmp_lg_u32 s5, 0
	s_cselect_b32 s5, s10, s8
	s_cselect_b32 s8, s11, s9
	v_readfirstlane_b32 s9, v1
	s_cmp_gt_u32 s9, 8
	s_cselect_b32 s9, -1, 0
	s_cmp_eq_u32 s4, 0
	s_cselect_b32 s4, s9, -1
	s_cmp_lg_u32 s4, 0
	s_cselect_b32 s5, s5, s6
	s_cselect_b32 s4, s8, s7
	s_add_u32 s28, s5, 1
	s_addc_u32 s29, s4, 0
	v_mov_b64_e32 v[2:3], s[28:29]
	v_cmp_lt_u64_e32 vcc, s[2:3], v[2:3]
	s_cbranch_vccnz .LBB0_2
; %bb.1:
	v_cvt_f32_u32_e32 v1, s28
	s_sub_i32 s4, 0, s28
	s_mov_b32 s23, s3
	v_rcp_iflag_f32_e32 v1, v1
	s_nop 0
	v_mul_f32_e32 v1, 0x4f7ffffe, v1
	v_cvt_u32_f32_e32 v1, v1
	s_nop 0
	v_readfirstlane_b32 s5, v1
	s_mul_i32 s4, s4, s5
	s_mul_hi_u32 s4, s5, s4
	s_add_i32 s5, s5, s4
	s_mul_hi_u32 s4, s2, s5
	s_mul_i32 s6, s4, s28
	s_sub_i32 s6, s2, s6
	s_add_i32 s5, s4, 1
	s_sub_i32 s7, s6, s28
	s_cmp_ge_u32 s6, s28
	s_cselect_b32 s4, s5, s4
	s_cselect_b32 s6, s7, s6
	s_add_i32 s5, s4, 1
	s_cmp_ge_u32 s6, s28
	s_cselect_b32 s22, s5, s4
.LBB0_2:
	s_load_dwordx4 s[4:7], s[0:1], 0x60
	s_load_dwordx4 s[12:15], s[18:19], 0x0
	;; [unrolled: 1-line block ×3, first 2 shown]
	s_load_dwordx2 s[20:21], s[0:1], 0x0
	s_load_dwordx2 s[34:35], s[0:1], 0x10
	s_mul_i32 s0, s22, s29
	s_mul_hi_u32 s1, s22, s28
	s_add_i32 s1, s1, s0
	s_mul_i32 s0, s22, s28
	s_sub_u32 s0, s2, s0
	s_subb_u32 s1, 0, s1
	s_mul_i32 s1, s1, 9
	s_waitcnt lgkmcnt(0)
	s_mul_hi_u32 s9, s0, 9
	s_add_i32 s31, s9, s1
	s_mul_i32 s30, s0, 9
	s_mul_i32 s0, s14, s31
	s_mul_hi_u32 s1, s14, s30
	s_add_i32 s0, s1, s0
	s_mul_i32 s1, s15, s30
	s_add_i32 s15, s0, s1
	s_mul_i32 s0, s10, s31
	s_mul_hi_u32 s1, s10, s30
	s_add_i32 s0, s1, s0
	s_mul_i32 s1, s11, s30
	s_add_i32 s11, s0, s1
	v_cmp_lt_u64_e64 s[0:1], s[34:35], 3
	s_mul_i32 s13, s14, s30
	s_mul_i32 s9, s10, s30
	s_and_b64 vcc, exec, s[0:1]
	s_cbranch_vccnz .LBB0_12
; %bb.3:
	s_add_u32 s36, s26, 16
	s_addc_u32 s37, s27, 0
	s_add_u32 s38, s18, 16
	s_addc_u32 s39, s19, 0
	;; [unrolled: 2-line block ×3, first 2 shown]
	s_mov_b64 s[40:41], 2
	s_mov_b32 s42, 0
	v_mov_b64_e32 v[2:3], s[34:35]
.LBB0_4:                                ; =>This Inner Loop Header: Depth=1
	s_load_dwordx2 s[44:45], s[16:17], 0x0
	s_waitcnt lgkmcnt(0)
	s_or_b64 s[0:1], s[22:23], s[44:45]
	s_mov_b32 s43, s1
	s_cmp_lg_u64 s[42:43], 0
	s_cbranch_scc0 .LBB0_9
; %bb.5:                                ;   in Loop: Header=BB0_4 Depth=1
	v_cvt_f32_u32_e32 v1, s44
	v_cvt_f32_u32_e32 v4, s45
	s_sub_u32 s0, 0, s44
	s_subb_u32 s1, 0, s45
	v_fmac_f32_e32 v1, 0x4f800000, v4
	v_rcp_f32_e32 v1, v1
	s_nop 0
	v_mul_f32_e32 v1, 0x5f7ffffc, v1
	v_mul_f32_e32 v4, 0x2f800000, v1
	v_trunc_f32_e32 v4, v4
	v_fmac_f32_e32 v1, 0xcf800000, v4
	v_cvt_u32_f32_e32 v4, v4
	v_cvt_u32_f32_e32 v1, v1
	v_readfirstlane_b32 s33, v4
	v_readfirstlane_b32 s43, v1
	s_mul_i32 s46, s0, s33
	s_mul_hi_u32 s48, s0, s43
	s_mul_i32 s47, s1, s43
	s_add_i32 s46, s48, s46
	s_mul_i32 s49, s0, s43
	s_add_i32 s46, s46, s47
	s_mul_hi_u32 s47, s43, s46
	s_mul_i32 s48, s43, s46
	s_mul_hi_u32 s43, s43, s49
	s_add_u32 s43, s43, s48
	s_addc_u32 s47, 0, s47
	s_mul_hi_u32 s50, s33, s49
	s_mul_i32 s49, s33, s49
	s_add_u32 s43, s43, s49
	s_mul_hi_u32 s48, s33, s46
	s_addc_u32 s43, s47, s50
	s_addc_u32 s47, s48, 0
	s_mul_i32 s46, s33, s46
	s_add_u32 s43, s43, s46
	s_addc_u32 s46, 0, s47
	v_add_co_u32_e32 v1, vcc, s43, v1
	s_cmp_lg_u64 vcc, 0
	s_addc_u32 s33, s33, s46
	v_readfirstlane_b32 s46, v1
	s_mul_i32 s43, s0, s33
	s_mul_hi_u32 s47, s0, s46
	s_add_i32 s43, s47, s43
	s_mul_i32 s1, s1, s46
	s_add_i32 s43, s43, s1
	s_mul_i32 s0, s0, s46
	s_mul_hi_u32 s47, s33, s0
	s_mul_i32 s48, s33, s0
	s_mul_i32 s50, s46, s43
	s_mul_hi_u32 s0, s46, s0
	s_mul_hi_u32 s49, s46, s43
	s_add_u32 s0, s0, s50
	s_addc_u32 s46, 0, s49
	s_add_u32 s0, s0, s48
	s_mul_hi_u32 s1, s33, s43
	s_addc_u32 s0, s46, s47
	s_addc_u32 s1, s1, 0
	s_mul_i32 s43, s33, s43
	s_add_u32 s0, s0, s43
	s_addc_u32 s1, 0, s1
	v_add_co_u32_e32 v1, vcc, s0, v1
	s_cmp_lg_u64 vcc, 0
	s_addc_u32 s0, s33, s1
	v_readfirstlane_b32 s43, v1
	s_mul_i32 s33, s22, s0
	s_mul_hi_u32 s46, s22, s43
	s_mul_hi_u32 s1, s22, s0
	s_add_u32 s33, s46, s33
	s_addc_u32 s1, 0, s1
	s_mul_hi_u32 s47, s23, s43
	s_mul_i32 s43, s23, s43
	s_add_u32 s33, s33, s43
	s_mul_hi_u32 s46, s23, s0
	s_addc_u32 s1, s1, s47
	s_addc_u32 s33, s46, 0
	s_mul_i32 s0, s23, s0
	s_add_u32 s43, s1, s0
	s_addc_u32 s33, 0, s33
	s_mul_i32 s0, s44, s33
	s_mul_hi_u32 s1, s44, s43
	s_add_i32 s0, s1, s0
	s_mul_i32 s1, s45, s43
	s_add_i32 s46, s0, s1
	s_mul_i32 s1, s44, s43
	v_mov_b32_e32 v1, s1
	s_sub_i32 s0, s23, s46
	v_sub_co_u32_e32 v1, vcc, s22, v1
	s_cmp_lg_u64 vcc, 0
	s_subb_u32 s47, s0, s45
	v_subrev_co_u32_e64 v4, s[0:1], s44, v1
	s_cmp_lg_u64 s[0:1], 0
	s_subb_u32 s0, s47, 0
	s_cmp_ge_u32 s0, s45
	v_readfirstlane_b32 s47, v4
	s_cselect_b32 s1, -1, 0
	s_cmp_ge_u32 s47, s44
	s_cselect_b32 s47, -1, 0
	s_cmp_eq_u32 s0, s45
	s_cselect_b32 s0, s47, s1
	s_add_u32 s1, s43, 1
	s_addc_u32 s47, s33, 0
	s_add_u32 s48, s43, 2
	s_addc_u32 s49, s33, 0
	s_cmp_lg_u32 s0, 0
	s_cselect_b32 s0, s48, s1
	s_cselect_b32 s1, s49, s47
	s_cmp_lg_u64 vcc, 0
	s_subb_u32 s46, s23, s46
	s_cmp_ge_u32 s46, s45
	v_readfirstlane_b32 s48, v1
	s_cselect_b32 s47, -1, 0
	s_cmp_ge_u32 s48, s44
	s_cselect_b32 s48, -1, 0
	s_cmp_eq_u32 s46, s45
	s_cselect_b32 s46, s48, s47
	s_cmp_lg_u32 s46, 0
	s_cselect_b32 s1, s1, s33
	s_cselect_b32 s0, s0, s43
	s_cbranch_execnz .LBB0_7
.LBB0_6:                                ;   in Loop: Header=BB0_4 Depth=1
	v_cvt_f32_u32_e32 v1, s44
	s_sub_i32 s0, 0, s44
	v_rcp_iflag_f32_e32 v1, v1
	s_nop 0
	v_mul_f32_e32 v1, 0x4f7ffffe, v1
	v_cvt_u32_f32_e32 v1, v1
	s_nop 0
	v_readfirstlane_b32 s1, v1
	s_mul_i32 s0, s0, s1
	s_mul_hi_u32 s0, s1, s0
	s_add_i32 s1, s1, s0
	s_mul_hi_u32 s0, s22, s1
	s_mul_i32 s33, s0, s44
	s_sub_i32 s33, s22, s33
	s_add_i32 s1, s0, 1
	s_sub_i32 s43, s33, s44
	s_cmp_ge_u32 s33, s44
	s_cselect_b32 s0, s1, s0
	s_cselect_b32 s33, s43, s33
	s_add_i32 s1, s0, 1
	s_cmp_ge_u32 s33, s44
	s_cselect_b32 s0, s1, s0
	s_mov_b32 s1, s42
.LBB0_7:                                ;   in Loop: Header=BB0_4 Depth=1
	s_mul_i32 s29, s44, s29
	s_mul_hi_u32 s33, s44, s28
	s_add_i32 s29, s33, s29
	s_mul_i32 s33, s45, s28
	s_add_i32 s29, s29, s33
	s_mul_i32 s33, s0, s45
	s_mul_hi_u32 s43, s0, s44
	s_load_dwordx2 s[46:47], s[38:39], 0x0
	s_add_i32 s33, s43, s33
	s_mul_i32 s43, s1, s44
	s_add_i32 s33, s33, s43
	s_mul_i32 s43, s0, s44
	s_sub_u32 s43, s22, s43
	s_subb_u32 s33, s23, s33
	s_waitcnt lgkmcnt(0)
	s_mul_i32 s22, s46, s33
	s_mul_hi_u32 s23, s46, s43
	s_mul_i32 s28, s44, s28
	s_add_i32 s44, s23, s22
	s_load_dwordx2 s[22:23], s[36:37], 0x0
	s_mul_i32 s45, s47, s43
	s_add_i32 s44, s44, s45
	s_mul_i32 s45, s46, s43
	s_add_u32 s13, s45, s13
	s_addc_u32 s15, s44, s15
	s_waitcnt lgkmcnt(0)
	s_mul_i32 s33, s22, s33
	s_mul_hi_u32 s44, s22, s43
	s_add_i32 s33, s44, s33
	s_mul_i32 s23, s23, s43
	s_add_i32 s33, s33, s23
	s_mul_i32 s22, s22, s43
	s_add_u32 s9, s22, s9
	s_addc_u32 s11, s33, s11
	s_add_u32 s40, s40, 1
	s_addc_u32 s41, s41, 0
	;; [unrolled: 2-line block ×4, first 2 shown]
	s_add_u32 s16, s16, 8
	v_cmp_ge_u64_e32 vcc, s[40:41], v[2:3]
	s_addc_u32 s17, s17, 0
	s_cbranch_vccnz .LBB0_10
; %bb.8:                                ;   in Loop: Header=BB0_4 Depth=1
	s_mov_b64 s[22:23], s[0:1]
	s_branch .LBB0_4
.LBB0_9:                                ;   in Loop: Header=BB0_4 Depth=1
                                        ; implicit-def: $sgpr0_sgpr1
	s_branch .LBB0_6
.LBB0_10:
	v_mov_b64_e32 v[2:3], s[28:29]
	v_cmp_lt_u64_e32 vcc, s[2:3], v[2:3]
	s_mov_b64 s[22:23], 0
	s_cbranch_vccnz .LBB0_12
; %bb.11:
	v_cvt_f32_u32_e32 v1, s28
	s_sub_i32 s0, 0, s28
	v_rcp_iflag_f32_e32 v1, v1
	s_nop 0
	v_mul_f32_e32 v1, 0x4f7ffffe, v1
	v_cvt_u32_f32_e32 v1, v1
	s_nop 0
	v_readfirstlane_b32 s1, v1
	s_mul_i32 s0, s0, s1
	s_mul_hi_u32 s0, s1, s0
	s_add_i32 s1, s1, s0
	s_mul_hi_u32 s0, s2, s1
	s_mul_i32 s3, s0, s28
	s_sub_i32 s2, s2, s3
	s_add_i32 s1, s0, 1
	s_sub_i32 s3, s2, s28
	s_cmp_ge_u32 s2, s28
	s_cselect_b32 s0, s1, s0
	s_cselect_b32 s2, s3, s2
	s_add_i32 s1, s0, 1
	s_cmp_ge_u32 s2, s28
	s_cselect_b32 s22, s1, s0
.LBB0_12:
	s_lshl_b64 s[0:1], s[34:35], 3
	s_add_u32 s2, s18, s0
	s_addc_u32 s3, s19, s1
	s_load_dwordx2 s[2:3], s[2:3], 0x0
	v_mul_u32_u24_e32 v1, 0x1c72, v0
	v_lshrrev_b32_e32 v1, 16, v1
	v_mul_lo_u16_e32 v2, 9, v1
	v_sub_u16_e32 v66, v0, v2
	s_waitcnt lgkmcnt(0)
	s_mul_i32 s2, s2, s22
	s_add_u32 s11, s2, s13
	s_add_u32 s2, s26, s0
	s_addc_u32 s3, s27, s1
	s_add_u32 s0, s30, 9
	v_mov_b32_e32 v67, 0
	s_addc_u32 s1, s31, 0
	v_mov_b64_e32 v[2:3], s[24:25]
	v_cmp_le_u64_e32 vcc, s[0:1], v[2:3]
	v_mad_u64_u32 v[2:3], s[0:1], s14, v66, 0
	v_lshl_add_u64 v[4:5], s[30:31], 0, v[66:67]
	v_cmp_gt_u64_e64 s[0:1], s[24:25], v[4:5]
	v_mov_b64_e32 v[44:45], 0
	s_or_b64 s[14:15], vcc, s[0:1]
	v_mov_b64_e32 v[8:9], v[44:45]
	v_mov_b64_e32 v[6:7], v[44:45]
	s_and_saveexec_b64 s[16:17], s[14:15]
	s_cbranch_execz .LBB0_14
; %bb.13:
	v_mul_lo_u32 v3, s12, v1
	v_add3_u32 v4, s11, v2, v3
	v_mov_b32_e32 v5, v67
	v_lshl_add_u64 v[4:5], v[4:5], 4, s[4:5]
	global_load_dwordx4 v[6:9], v[4:5], off
.LBB0_14:
	s_or_b64 exec, exec, s[16:17]
	v_mov_b64_e32 v[42:43], v[44:45]
	s_and_saveexec_b64 s[16:17], s[14:15]
	s_cbranch_execz .LBB0_16
; %bb.15:
	v_add_u32_e32 v3, 16, v1
	v_mul_lo_u32 v3, s12, v3
	v_add3_u32 v4, s11, v2, v3
	v_mov_b32_e32 v5, 0
	v_lshl_add_u64 v[4:5], v[4:5], 4, s[4:5]
	global_load_dwordx4 v[42:45], v[4:5], off
.LBB0_16:
	s_or_b64 exec, exec, s[16:17]
	v_mov_b64_e32 v[28:29], 0
	v_mov_b64_e32 v[36:37], v[28:29]
	v_mov_b64_e32 v[34:35], v[28:29]
	s_and_saveexec_b64 s[16:17], s[14:15]
	s_cbranch_execz .LBB0_18
; %bb.17:
	v_or_b32_e32 v3, 32, v1
	v_mul_lo_u32 v3, s12, v3
	v_add3_u32 v4, s11, v2, v3
	v_mov_b32_e32 v5, 0
	v_lshl_add_u64 v[4:5], v[4:5], 4, s[4:5]
	global_load_dwordx4 v[34:37], v[4:5], off
.LBB0_18:
	s_or_b64 exec, exec, s[16:17]
	v_mov_b64_e32 v[26:27], v[28:29]
	s_and_saveexec_b64 s[16:17], s[14:15]
	s_cbranch_execz .LBB0_20
; %bb.19:
	v_add_u32_e32 v3, 48, v1
	v_mul_lo_u32 v3, s12, v3
	v_add3_u32 v4, s11, v2, v3
	v_mov_b32_e32 v5, 0
	v_lshl_add_u64 v[4:5], v[4:5], 4, s[4:5]
	global_load_dwordx4 v[26:29], v[4:5], off
.LBB0_20:
	s_or_b64 exec, exec, s[16:17]
	v_mov_b64_e32 v[20:21], 0
	v_mov_b64_e32 v[24:25], v[20:21]
	v_mov_b64_e32 v[22:23], v[20:21]
	s_and_saveexec_b64 s[16:17], s[14:15]
	s_cbranch_execz .LBB0_22
; %bb.21:
	v_or_b32_e32 v3, 64, v1
	v_mul_lo_u32 v3, s12, v3
	v_add3_u32 v4, s11, v2, v3
	v_mov_b32_e32 v5, 0
	v_lshl_add_u64 v[4:5], v[4:5], 4, s[4:5]
	global_load_dwordx4 v[22:25], v[4:5], off
.LBB0_22:
	;; [unrolled: 26-line block ×5, first 2 shown]
	s_or_b64 exec, exec, s[16:17]
	v_mov_b64_e32 v[50:51], v[52:53]
	s_and_saveexec_b64 s[16:17], s[14:15]
	s_cbranch_execz .LBB0_36
; %bb.35:
	v_add_u32_e32 v3, 0xb0, v1
	v_mul_lo_u32 v3, s12, v3
	v_add3_u32 v4, s11, v2, v3
	v_mov_b32_e32 v5, 0
	v_lshl_add_u64 v[4:5], v[4:5], 4, s[4:5]
	global_load_dwordx4 v[50:53], v[4:5], off
.LBB0_36:
	s_or_b64 exec, exec, s[16:17]
	v_mov_b64_e32 v[56:57], 0
	v_mov_b64_e32 v[54:55], v[56:57]
	s_and_saveexec_b64 s[16:17], s[14:15]
	s_cbranch_execz .LBB0_38
; %bb.37:
	v_or_b32_e32 v3, 0xc0, v1
	v_mul_lo_u32 v3, s12, v3
	v_add3_u32 v2, s11, v2, v3
	v_mov_b32_e32 v3, 0
	v_lshl_add_u64 v[2:3], v[2:3], 4, s[4:5]
	global_load_dwordx4 v[54:57], v[2:3], off
.LBB0_38:
	s_or_b64 exec, exec, s[16:17]
	s_waitcnt vmcnt(0)
	v_add_f64 v[2:3], v[6:7], v[42:43]
	v_add_f64 v[4:5], v[8:9], v[44:45]
	;; [unrolled: 1-line block ×20, first 2 shown]
	s_mov_b32 s16, 0xe00740e9
	s_mov_b32 s14, 0x1ea71119
	;; [unrolled: 1-line block ×6, first 2 shown]
	v_add_f64 v[2:3], v[2:3], v[50:51]
	v_add_f64 v[4:5], v[4:5], v[52:53]
	;; [unrolled: 1-line block ×3, first 2 shown]
	s_mov_b32 s17, 0x3fec55a7
	s_mov_b32 s24, 0x4267c47c
	;; [unrolled: 1-line block ×12, first 2 shown]
	v_add_f64 v[2:3], v[2:3], v[54:55]
	v_add_f64 v[4:5], v[4:5], v[56:57]
	;; [unrolled: 1-line block ×3, first 2 shown]
	v_add_f64 v[42:43], v[42:43], -v[54:55]
	v_add_f64 v[44:45], v[44:45], -v[56:57]
	v_add_f64 v[54:55], v[36:37], v[52:53]
	v_add_f64 v[56:57], v[36:37], -v[52:53]
	v_add_f64 v[62:63], v[26:27], v[46:47]
	;; [unrolled: 2-line block ×5, first 2 shown]
	v_add_f64 v[88:89], v[14:15], -v[10:11]
	s_mov_b32 s25, 0x3fddbe06
	s_mov_b32 s41, 0xbfddbe06
	s_mov_b32 s40, s24
	v_mul_f64 v[10:11], v[82:83], s[16:17]
	s_mov_b32 s19, 0x3fea55e2
	s_mov_b32 s39, 0xbfea55e2
	s_mov_b32 s38, s18
	v_mul_f64 v[14:15], v[82:83], s[14:15]
	;; [unrolled: 4-line block ×5, first 2 shown]
	v_mul_f64 v[30:31], v[82:83], s[46:47]
	s_mov_b32 s49, 0x3fcea1e5
	s_mov_b32 s51, 0xbfcea1e5
	;; [unrolled: 1-line block ×3, first 2 shown]
	v_add_f64 v[58:59], v[34:35], v[50:51]
	v_add_f64 v[60:61], v[28:29], v[48:49]
	v_add_f64 v[46:47], v[28:29], -v[48:49]
	v_add_f64 v[48:49], v[24:25], v[40:41]
	v_add_f64 v[64:65], v[24:25], -v[40:41]
	;; [unrolled: 2-line block ×4, first 2 shown]
	v_fma_f64 v[12:13], s[24:25], v[44:45], v[10:11]
	v_fmac_f64_e32 v[10:11], s[40:41], v[44:45]
	v_fma_f64 v[16:17], s[18:19], v[44:45], v[14:15]
	v_fmac_f64_e32 v[14:15], s[38:39], v[44:45]
	;; [unrolled: 2-line block ×6, first 2 shown]
	v_mul_f64 v[38:39], v[42:43], s[38:39]
	v_mul_f64 v[44:45], v[42:43], s[34:35]
	;; [unrolled: 1-line block ×3, first 2 shown]
	v_fma_f64 v[40:41], s[14:15], v[76:77], v[38:39]
	v_fma_f64 v[82:83], s[4:5], v[76:77], v[44:45]
	;; [unrolled: 1-line block ×3, first 2 shown]
	v_add_f64 v[108:109], v[6:7], v[18:19]
	v_mul_f64 v[18:19], v[58:59], s[14:15]
	v_add_f64 v[50:51], v[34:35], -v[50:51]
	v_mul_f64 v[34:35], v[42:43], s[40:41]
	v_mul_f64 v[96:97], v[42:43], s[36:37]
	;; [unrolled: 1-line block ×3, first 2 shown]
	v_add_f64 v[12:13], v[6:7], v[12:13]
	v_add_f64 v[10:11], v[6:7], v[10:11]
	v_add_f64 v[16:17], v[6:7], v[16:17]
	v_add_f64 v[102:103], v[8:9], v[40:41]
	v_add_f64 v[14:15], v[6:7], v[14:15]
	v_add_f64 v[20:21], v[6:7], v[20:21]
	v_add_f64 v[106:107], v[8:9], v[82:83]
	v_add_f64 v[110:111], v[6:7], v[24:25]
	v_add_f64 v[112:113], v[8:9], v[94:95]
	v_add_f64 v[114:115], v[6:7], v[22:23]
	v_add_f64 v[118:119], v[6:7], v[28:29]
	v_add_f64 v[40:41], v[6:7], v[26:27]
	v_add_f64 v[94:95], v[6:7], v[32:33]
	v_add_f64 v[82:83], v[6:7], v[30:31]
	v_fma_f64 v[6:7], s[18:19], v[56:57], v[18:19]
	v_mul_f64 v[22:23], v[62:63], s[4:5]
	v_fma_f64 v[36:37], s[16:17], v[76:77], v[34:35]
	v_fma_f64 v[34:35], v[76:77], s[16:17], -v[34:35]
	v_fma_f64 v[38:39], v[76:77], s[14:15], -v[38:39]
	;; [unrolled: 1-line block ×4, first 2 shown]
	v_fma_f64 v[98:99], s[30:31], v[76:77], v[96:97]
	v_fma_f64 v[96:97], v[76:77], s[30:31], -v[96:97]
	v_fma_f64 v[100:101], s[46:47], v[76:77], v[42:43]
	v_fma_f64 v[42:43], v[76:77], s[46:47], -v[42:43]
	v_add_f64 v[6:7], v[6:7], v[12:13]
	v_mul_f64 v[12:13], v[50:51], s[38:39]
	v_fma_f64 v[24:25], s[12:13], v[46:47], v[22:23]
	v_add_f64 v[36:37], v[8:9], v[36:37]
	v_add_f64 v[34:35], v[8:9], v[34:35]
	;; [unrolled: 1-line block ×9, first 2 shown]
	v_fma_f64 v[8:9], s[14:15], v[54:55], v[12:13]
	v_add_f64 v[6:7], v[24:25], v[6:7]
	v_mul_f64 v[24:25], v[52:53], s[34:35]
	v_add_f64 v[8:9], v[8:9], v[36:37]
	v_fma_f64 v[26:27], s[4:5], v[60:61], v[24:25]
	v_add_f64 v[8:9], v[26:27], v[8:9]
	v_mul_f64 v[26:27], v[70:71], s[26:27]
	v_fma_f64 v[28:29], s[42:43], v[64:65], v[26:27]
	v_add_f64 v[6:7], v[28:29], v[6:7]
	v_mul_f64 v[28:29], v[68:69], s[28:29]
	;; [unrolled: 3-line block ×4, first 2 shown]
	v_fma_f64 v[36:37], s[30:31], v[72:73], v[32:33]
	v_fmac_f64_e32 v[18:19], s[38:39], v[56:57]
	v_fma_f64 v[12:13], v[54:55], s[14:15], -v[12:13]
	v_add_f64 v[8:9], v[36:37], v[8:9]
	v_mul_f64 v[36:37], v[90:91], s[46:47]
	v_add_f64 v[10:11], v[18:19], v[10:11]
	v_add_f64 v[12:13], v[12:13], v[34:35]
	v_fma_f64 v[18:19], v[60:61], s[4:5], -v[24:25]
	v_fma_f64 v[42:43], s[48:49], v[86:87], v[36:37]
	v_add_f64 v[12:13], v[18:19], v[12:13]
	v_fma_f64 v[18:19], v[48:49], s[26:27], -v[28:29]
	v_add_f64 v[6:7], v[42:43], v[6:7]
	v_mul_f64 v[42:43], v[88:89], s[50:51]
	v_add_f64 v[12:13], v[18:19], v[12:13]
	v_fma_f64 v[18:19], v[72:73], s[30:31], -v[32:33]
	v_fmac_f64_e32 v[22:23], s[34:35], v[46:47]
	v_add_f64 v[12:13], v[18:19], v[12:13]
	v_fma_f64 v[18:19], v[84:85], s[46:47], -v[42:43]
	v_add_f64 v[10:11], v[22:23], v[10:11]
	v_fmac_f64_e32 v[26:27], s[28:29], v[64:65]
	v_add_f64 v[12:13], v[18:19], v[12:13]
	v_mul_f64 v[18:19], v[58:59], s[26:27]
	v_add_f64 v[10:11], v[26:27], v[10:11]
	v_fmac_f64_e32 v[30:31], s[36:37], v[74:75]
	v_fma_f64 v[22:23], s[42:43], v[56:57], v[18:19]
	v_mul_f64 v[26:27], v[50:51], s[28:29]
	v_mul_f64 v[28:29], v[62:63], s[46:47]
	v_add_f64 v[10:11], v[30:31], v[10:11]
	v_add_f64 v[16:17], v[22:23], v[16:17]
	v_fma_f64 v[22:23], s[26:27], v[54:55], v[26:27]
	v_fma_f64 v[24:25], s[48:49], v[46:47], v[28:29]
	v_mul_f64 v[30:31], v[52:53], s[50:51]
	v_add_f64 v[22:23], v[22:23], v[102:103]
	v_add_f64 v[16:17], v[24:25], v[16:17]
	v_fma_f64 v[24:25], s[46:47], v[60:61], v[30:31]
	v_mul_f64 v[32:33], v[70:71], s[30:31]
	v_fmac_f64_e32 v[36:37], s[50:51], v[86:87]
	v_add_f64 v[22:23], v[24:25], v[22:23]
	v_fma_f64 v[24:25], s[36:37], v[64:65], v[32:33]
	v_mul_f64 v[34:35], v[68:69], s[44:45]
	v_add_f64 v[10:11], v[36:37], v[10:11]
	v_add_f64 v[16:17], v[24:25], v[16:17]
	v_fma_f64 v[24:25], s[30:31], v[48:49], v[34:35]
	v_mul_f64 v[36:37], v[80:81], s[4:5]
	v_fmac_f64_e32 v[18:19], s[28:29], v[56:57]
	v_fma_f64 v[96:97], s[46:47], v[84:85], v[42:43]
	v_add_f64 v[22:23], v[24:25], v[22:23]
	v_fma_f64 v[24:25], s[34:35], v[74:75], v[36:37]
	v_mul_f64 v[42:43], v[78:79], s[12:13]
	v_add_f64 v[14:15], v[18:19], v[14:15]
	v_fma_f64 v[18:19], v[54:55], s[26:27], -v[26:27]
	v_fmac_f64_e32 v[28:29], s[50:51], v[46:47]
	v_add_f64 v[8:9], v[96:97], v[8:9]
	v_add_f64 v[16:17], v[24:25], v[16:17]
	v_fma_f64 v[24:25], s[4:5], v[72:73], v[42:43]
	v_mul_f64 v[96:97], v[90:91], s[16:17]
	v_add_f64 v[18:19], v[18:19], v[104:105]
	v_add_f64 v[14:15], v[28:29], v[14:15]
	v_fma_f64 v[26:27], v[60:61], s[46:47], -v[30:31]
	v_fmac_f64_e32 v[32:33], s[44:45], v[64:65]
	v_add_f64 v[24:25], v[24:25], v[22:23]
	v_fma_f64 v[22:23], s[40:41], v[86:87], v[96:97]
	v_add_f64 v[18:19], v[26:27], v[18:19]
	v_add_f64 v[14:15], v[32:33], v[14:15]
	v_fma_f64 v[26:27], v[48:49], s[30:31], -v[34:35]
	v_fmac_f64_e32 v[36:37], s[12:13], v[74:75]
	v_add_f64 v[22:23], v[22:23], v[16:17]
	v_mul_f64 v[16:17], v[88:89], s[24:25]
	v_add_f64 v[18:19], v[26:27], v[18:19]
	v_add_f64 v[14:15], v[36:37], v[14:15]
	v_fma_f64 v[26:27], v[72:73], s[4:5], -v[42:43]
	v_fmac_f64_e32 v[96:97], s[24:25], v[86:87]
	v_add_f64 v[18:19], v[26:27], v[18:19]
	v_add_f64 v[26:27], v[96:97], v[14:15]
	v_fma_f64 v[14:15], v[84:85], s[16:17], -v[16:17]
	v_add_f64 v[28:29], v[14:15], v[18:19]
	v_mul_f64 v[14:15], v[58:59], s[46:47]
	v_fma_f64 v[100:101], s[16:17], v[84:85], v[16:17]
	v_fma_f64 v[16:17], s[48:49], v[56:57], v[14:15]
	v_mul_f64 v[30:31], v[50:51], s[50:51]
	v_mul_f64 v[32:33], v[62:63], s[26:27]
	v_add_f64 v[16:17], v[16:17], v[20:21]
	v_fma_f64 v[18:19], s[46:47], v[54:55], v[30:31]
	v_fma_f64 v[20:21], s[28:29], v[46:47], v[32:33]
	v_mul_f64 v[34:35], v[52:53], s[42:43]
	v_add_f64 v[18:19], v[18:19], v[106:107]
	v_add_f64 v[16:17], v[20:21], v[16:17]
	v_fma_f64 v[20:21], s[26:27], v[60:61], v[34:35]
	v_mul_f64 v[36:37], v[70:71], s[16:17]
	v_add_f64 v[18:19], v[20:21], v[18:19]
	v_fma_f64 v[20:21], s[40:41], v[64:65], v[36:37]
	v_mul_f64 v[42:43], v[68:69], s[24:25]
	;; [unrolled: 3-line block ×3, first 2 shown]
	v_fmac_f64_e32 v[14:15], s[50:51], v[56:57]
	v_add_f64 v[24:25], v[100:101], v[24:25]
	v_add_f64 v[18:19], v[20:21], v[18:19]
	v_fma_f64 v[20:21], s[18:19], v[74:75], v[96:97]
	v_mul_f64 v[100:101], v[78:79], s[38:39]
	v_add_f64 v[14:15], v[14:15], v[108:109]
	v_fma_f64 v[30:31], v[54:55], s[46:47], -v[30:31]
	v_fmac_f64_e32 v[32:33], s[42:43], v[46:47]
	v_add_f64 v[16:17], v[20:21], v[16:17]
	v_fma_f64 v[20:21], s[14:15], v[72:73], v[100:101]
	v_mul_f64 v[102:103], v[90:91], s[30:31]
	v_add_f64 v[30:31], v[30:31], v[44:45]
	v_add_f64 v[14:15], v[32:33], v[14:15]
	v_fma_f64 v[32:33], v[60:61], s[26:27], -v[34:35]
	v_fmac_f64_e32 v[36:37], s[24:25], v[64:65]
	v_add_f64 v[20:21], v[20:21], v[18:19]
	v_fma_f64 v[18:19], s[44:45], v[86:87], v[102:103]
	v_add_f64 v[30:31], v[32:33], v[30:31]
	v_add_f64 v[14:15], v[36:37], v[14:15]
	v_fma_f64 v[32:33], v[48:49], s[16:17], -v[42:43]
	v_fmac_f64_e32 v[96:97], s[38:39], v[74:75]
	v_add_f64 v[18:19], v[18:19], v[16:17]
	v_mul_f64 v[16:17], v[88:89], s[36:37]
	v_add_f64 v[30:31], v[32:33], v[30:31]
	v_add_f64 v[14:15], v[96:97], v[14:15]
	v_fma_f64 v[32:33], v[72:73], s[14:15], -v[100:101]
	v_fmac_f64_e32 v[102:103], s[36:37], v[86:87]
	v_add_f64 v[30:31], v[32:33], v[30:31]
	v_add_f64 v[42:43], v[102:103], v[14:15]
	v_fma_f64 v[14:15], v[84:85], s[30:31], -v[16:17]
	v_add_f64 v[44:45], v[14:15], v[30:31]
	v_mul_f64 v[30:31], v[58:59], s[30:31]
	v_fma_f64 v[14:15], s[36:37], v[56:57], v[30:31]
	v_mul_f64 v[34:35], v[62:63], s[16:17]
	v_add_f64 v[14:15], v[14:15], v[110:111]
	v_mul_f64 v[32:33], v[50:51], s[44:45]
	v_fma_f64 v[36:37], s[40:41], v[46:47], v[34:35]
	v_fma_f64 v[104:105], s[30:31], v[84:85], v[16:17]
	;; [unrolled: 1-line block ×3, first 2 shown]
	v_add_f64 v[14:15], v[36:37], v[14:15]
	v_mul_f64 v[36:37], v[52:53], s[24:25]
	v_add_f64 v[16:17], v[16:17], v[112:113]
	v_fma_f64 v[96:97], s[16:17], v[60:61], v[36:37]
	v_add_f64 v[16:17], v[96:97], v[16:17]
	v_mul_f64 v[96:97], v[70:71], s[4:5]
	v_fma_f64 v[100:101], s[12:13], v[64:65], v[96:97]
	v_add_f64 v[14:15], v[100:101], v[14:15]
	v_mul_f64 v[100:101], v[68:69], s[34:35]
	;; [unrolled: 3-line block ×3, first 2 shown]
	v_add_f64 v[20:21], v[104:105], v[20:21]
	v_fma_f64 v[104:105], s[50:51], v[74:75], v[102:103]
	v_add_f64 v[14:15], v[104:105], v[14:15]
	v_mul_f64 v[104:105], v[78:79], s[48:49]
	v_fmac_f64_e32 v[30:31], s[44:45], v[56:57]
	v_fma_f64 v[106:107], s[46:47], v[72:73], v[104:105]
	v_add_f64 v[30:31], v[30:31], v[114:115]
	v_fma_f64 v[32:33], v[54:55], s[30:31], -v[32:33]
	v_fmac_f64_e32 v[34:35], s[24:25], v[46:47]
	v_add_f64 v[16:17], v[106:107], v[16:17]
	v_mul_f64 v[106:107], v[90:91], s[14:15]
	v_add_f64 v[32:33], v[32:33], v[116:117]
	v_add_f64 v[30:31], v[34:35], v[30:31]
	v_fma_f64 v[34:35], v[60:61], s[16:17], -v[36:37]
	v_fmac_f64_e32 v[96:97], s[34:35], v[64:65]
	v_fma_f64 v[108:109], s[38:39], v[86:87], v[106:107]
	v_add_f64 v[32:33], v[34:35], v[32:33]
	v_add_f64 v[30:31], v[96:97], v[30:31]
	v_fma_f64 v[34:35], v[48:49], s[4:5], -v[100:101]
	v_fmac_f64_e32 v[102:103], s[48:49], v[74:75]
	v_add_f64 v[14:15], v[108:109], v[14:15]
	v_mul_f64 v[108:109], v[88:89], s[18:19]
	v_add_f64 v[32:33], v[34:35], v[32:33]
	v_add_f64 v[30:31], v[102:103], v[30:31]
	v_fma_f64 v[34:35], v[72:73], s[46:47], -v[104:105]
	v_fmac_f64_e32 v[106:107], s[18:19], v[86:87]
	v_add_f64 v[32:33], v[34:35], v[32:33]
	v_add_f64 v[34:35], v[106:107], v[30:31]
	v_fma_f64 v[30:31], v[84:85], s[14:15], -v[108:109]
	v_mul_f64 v[100:101], v[50:51], s[12:13]
	v_add_f64 v[36:37], v[30:31], v[32:33]
	v_mul_f64 v[96:97], v[58:59], s[4:5]
	v_fma_f64 v[32:33], s[4:5], v[54:55], v[100:101]
	v_fma_f64 v[30:31], s[34:35], v[56:57], v[96:97]
	v_add_f64 v[32:33], v[32:33], v[98:99]
	v_mul_f64 v[98:99], v[62:63], s[14:15]
	v_add_f64 v[30:31], v[30:31], v[118:119]
	v_fma_f64 v[102:103], s[18:19], v[46:47], v[98:99]
	v_add_f64 v[30:31], v[102:103], v[30:31]
	v_mul_f64 v[102:103], v[52:53], s[38:39]
	v_fma_f64 v[104:105], s[14:15], v[60:61], v[102:103]
	v_add_f64 v[32:33], v[104:105], v[32:33]
	v_mul_f64 v[104:105], v[70:71], s[46:47]
	;; [unrolled: 3-line block ×3, first 2 shown]
	v_fma_f64 v[110:111], s[14:15], v[84:85], v[108:109]
	v_fma_f64 v[108:109], s[46:47], v[48:49], v[106:107]
	v_add_f64 v[32:33], v[108:109], v[32:33]
	v_mul_f64 v[108:109], v[80:81], s[16:17]
	v_add_f64 v[16:17], v[110:111], v[16:17]
	v_fma_f64 v[110:111], s[40:41], v[74:75], v[108:109]
	v_add_f64 v[30:31], v[110:111], v[30:31]
	v_mul_f64 v[110:111], v[78:79], s[24:25]
	v_fmac_f64_e32 v[96:97], s[12:13], v[56:57]
	v_fma_f64 v[112:113], s[16:17], v[72:73], v[110:111]
	v_add_f64 v[40:41], v[96:97], v[40:41]
	v_fma_f64 v[96:97], v[54:55], s[4:5], -v[100:101]
	v_fmac_f64_e32 v[98:99], s[38:39], v[46:47]
	v_add_f64 v[32:33], v[112:113], v[32:33]
	v_mul_f64 v[112:113], v[90:91], s[26:27]
	v_add_f64 v[38:39], v[96:97], v[38:39]
	v_add_f64 v[40:41], v[98:99], v[40:41]
	v_fma_f64 v[96:97], v[60:61], s[14:15], -v[102:103]
	v_fmac_f64_e32 v[104:105], s[48:49], v[64:65]
	v_fma_f64 v[114:115], s[42:43], v[86:87], v[112:113]
	v_add_f64 v[38:39], v[96:97], v[38:39]
	v_add_f64 v[40:41], v[104:105], v[40:41]
	v_fma_f64 v[96:97], v[48:49], s[46:47], -v[106:107]
	v_fmac_f64_e32 v[108:109], s[24:25], v[74:75]
	v_add_f64 v[30:31], v[114:115], v[30:31]
	v_mul_f64 v[114:115], v[88:89], s[28:29]
	v_add_f64 v[38:39], v[96:97], v[38:39]
	v_add_f64 v[40:41], v[108:109], v[40:41]
	v_fma_f64 v[96:97], v[72:73], s[16:17], -v[110:111]
	v_fmac_f64_e32 v[112:113], s[28:29], v[86:87]
	v_add_f64 v[96:97], v[96:97], v[38:39]
	v_add_f64 v[38:39], v[112:113], v[40:41]
	v_fma_f64 v[40:41], v[84:85], s[26:27], -v[114:115]
	v_mul_f64 v[58:59], v[58:59], s[16:17]
	v_add_f64 v[40:41], v[40:41], v[96:97]
	v_fma_f64 v[96:97], s[40:41], v[56:57], v[58:59]
	v_add_f64 v[94:95], v[96:97], v[94:95]
	v_mul_f64 v[96:97], v[50:51], s[24:25]
	v_fma_f64 v[50:51], s[16:17], v[54:55], v[96:97]
	v_mul_f64 v[62:63], v[62:63], s[30:31]
	v_add_f64 v[50:51], v[50:51], v[92:93]
	v_fma_f64 v[92:93], s[44:45], v[46:47], v[62:63]
	v_add_f64 v[92:93], v[92:93], v[94:95]
	v_mul_f64 v[94:95], v[52:53], s[36:37]
	v_fma_f64 v[52:53], s[30:31], v[60:61], v[94:95]
	v_mul_f64 v[70:71], v[70:71], s[14:15]
	v_add_f64 v[50:51], v[52:53], v[50:51]
	v_fma_f64 v[52:53], s[38:39], v[64:65], v[70:71]
	v_mul_f64 v[68:69], v[68:69], s[18:19]
	v_add_f64 v[52:53], v[52:53], v[92:93]
	v_fma_f64 v[92:93], s[14:15], v[48:49], v[68:69]
	v_mul_f64 v[80:81], v[80:81], s[26:27]
	v_fmac_f64_e32 v[58:59], s[24:25], v[56:57]
	v_add_f64 v[50:51], v[92:93], v[50:51]
	v_fma_f64 v[92:93], s[42:43], v[74:75], v[80:81]
	v_mul_f64 v[78:79], v[78:79], s[28:29]
	v_add_f64 v[56:57], v[58:59], v[82:83]
	v_fma_f64 v[54:55], v[54:55], s[16:17], -v[96:97]
	v_fmac_f64_e32 v[62:63], s[36:37], v[46:47]
	v_add_f64 v[52:53], v[92:93], v[52:53]
	v_fma_f64 v[92:93], s[26:27], v[72:73], v[78:79]
	v_mul_f64 v[90:91], v[90:91], s[4:5]
	v_add_f64 v[54:55], v[54:55], v[76:77]
	v_add_f64 v[46:47], v[62:63], v[56:57]
	v_fma_f64 v[56:57], v[60:61], s[30:31], -v[94:95]
	v_add_f64 v[92:93], v[92:93], v[50:51]
	v_fma_f64 v[50:51], s[34:35], v[86:87], v[90:91]
	v_mul_f64 v[88:89], v[88:89], s[12:13]
	v_add_f64 v[54:55], v[56:57], v[54:55]
	v_fma_f64 v[48:49], v[48:49], s[14:15], -v[68:69]
	v_fmac_f64_e32 v[90:91], s[12:13], v[86:87]
	s_load_dwordx2 s[12:13], s[2:3], 0x0
	v_fmac_f64_e32 v[70:71], s[18:19], v[64:65]
	v_add_f64 v[48:49], v[48:49], v[54:55]
	v_fma_f64 v[54:55], v[72:73], s[26:27], -v[78:79]
	v_add_f64 v[46:47], v[70:71], v[46:47]
	v_fmac_f64_e32 v[80:81], s[28:29], v[74:75]
	v_add_f64 v[48:49], v[54:55], v[48:49]
	v_fma_f64 v[54:55], v[84:85], s[4:5], -v[88:89]
	s_movk_i32 s2, 0x750
	v_fma_f64 v[116:117], s[26:27], v[84:85], v[114:115]
	v_add_f64 v[50:51], v[50:51], v[52:53]
	v_fma_f64 v[52:53], s[4:5], v[84:85], v[88:89]
	v_add_f64 v[46:47], v[80:81], v[46:47]
	v_add_f64 v[48:49], v[54:55], v[48:49]
	v_mad_u32_u24 v54, v1, s2, 0
	s_movk_i32 s11, 0x75
	v_add_f64 v[32:33], v[116:117], v[32:33]
	v_add_f64 v[52:53], v[52:53], v[92:93]
	;; [unrolled: 1-line block ×3, first 2 shown]
	v_lshl_add_u32 v55, v66, 4, v54
	v_cmp_gt_u32_e64 s[2:3], s11, v0
	ds_write_b128 v55, v[2:5]
	ds_write_b128 v55, v[6:9] offset:144
	ds_write_b128 v55, v[22:25] offset:288
	;; [unrolled: 1-line block ×12, first 2 shown]
	s_waitcnt lgkmcnt(0)
	s_barrier
	s_waitcnt lgkmcnt(0)
                                        ; implicit-def: $vgpr56_vgpr57
                                        ; implicit-def: $vgpr64_vgpr65
                                        ; implicit-def: $vgpr60_vgpr61
	s_and_saveexec_b64 s[4:5], s[2:3]
	s_cbranch_execz .LBB0_40
; %bb.39:
	v_mul_i32_i24_e32 v2, 0xfffff940, v1
	v_lshlrev_b32_e32 v3, 4, v66
	v_add3_u32 v58, v54, v2, v3
	ds_read_b128 v[2:5], v58
	ds_read_b128 v[6:9], v58 offset:1872
	ds_read_b128 v[22:25], v58 offset:3744
	;; [unrolled: 1-line block ×15, first 2 shown]
.LBB0_40:
	s_or_b64 exec, exec, s[4:5]
	s_movk_i32 s2, 0x74
	v_cmp_lt_u32_e64 s[2:3], s2, v0
	v_cmp_gt_u32_e64 s[4:5], s11, v0
	v_cndmask_b32_e64 v68, 0, 1, s[0:1]
	s_or_b64 vcc, s[2:3], vcc
	v_cndmask_b32_e64 v67, 0, 1, s[4:5]
	v_cndmask_b32_e32 v67, v68, v67, vcc
	v_and_b32_e32 v67, 1, v67
	v_cmp_eq_u32_e32 vcc, 1, v67
	s_and_saveexec_b64 s[0:1], vcc
	s_cbranch_execz .LBB0_42
; %bb.41:
	v_mul_lo_u16_e32 v67, 20, v1
	v_mov_b32_e32 v68, 13
	v_mul_lo_u16_sdwa v67, v67, v68 dst_sel:DWORD dst_unused:UNUSED_PAD src0_sel:BYTE_1 src1_sel:DWORD
	v_sub_u16_e32 v67, v1, v67
	v_mov_b32_e32 v1, 15
	v_mul_u32_u24_sdwa v1, v67, v1 dst_sel:DWORD dst_unused:UNUSED_PAD src0_sel:BYTE_0 src1_sel:DWORD
	v_lshlrev_b32_e32 v1, 4, v1
	global_load_dwordx4 v[68:71], v1, s[20:21] offset:16
	global_load_dwordx4 v[72:75], v1, s[20:21] offset:144
	;; [unrolled: 1-line block ×8, first 2 shown]
	global_load_dwordx4 v[100:103], v1, s[20:21]
	global_load_dwordx4 v[104:107], v1, s[20:21] offset:160
	global_load_dwordx4 v[108:111], v1, s[20:21] offset:128
	;; [unrolled: 1-line block ×3, first 2 shown]
	s_movk_i32 s3, 0x231
	s_movk_i32 s4, 0xd0
	v_mul_u32_u24_sdwa v0, v0, s3 dst_sel:DWORD dst_unused:UNUSED_PAD src0_sel:WORD_0 src1_sel:DWORD
	v_mul_lo_u16_sdwa v0, v0, s4 dst_sel:DWORD dst_unused:UNUSED_PAD src0_sel:WORD_1 src1_sel:DWORD
	v_or_b32_sdwa v0, v67, v0 dst_sel:DWORD dst_unused:UNUSED_PAD src0_sel:BYTE_0 src1_sel:DWORD
	s_mov_b32 s0, 0x667f3bcd
	s_mul_i32 s2, s12, s22
	s_mov_b32 s1, 0x3fe6a09e
	s_add_i32 s9, s2, s9
	s_mov_b32 s3, 0xbfe6a09e
	s_mov_b32 s2, s0
	;; [unrolled: 1-line block ×9, first 2 shown]
	s_waitcnt vmcnt(11) lgkmcnt(13)
	v_mul_f64 v[116:117], v[24:25], v[70:71]
	v_mul_f64 v[118:119], v[22:23], v[70:71]
	v_fma_f64 v[116:117], v[22:23], v[68:69], -v[116:117]
	v_fmac_f64_e32 v[118:119], v[24:25], v[68:69]
	global_load_dwordx4 v[22:25], v1, s[20:21] offset:192
	s_waitcnt vmcnt(11) lgkmcnt(5)
	v_mul_f64 v[68:69], v[44:45], v[74:75]
	v_mul_f64 v[74:75], v[42:43], v[74:75]
	v_fma_f64 v[120:121], v[42:43], v[72:73], -v[68:69]
	v_fmac_f64_e32 v[74:75], v[44:45], v[72:73]
	global_load_dwordx4 v[42:45], v1, s[20:21] offset:96
	global_load_dwordx4 v[68:71], v1, s[20:21] offset:224
	s_waitcnt vmcnt(11) lgkmcnt(1)
	v_mul_f64 v[72:73], v[62:63], v[82:83]
	v_mul_f64 v[82:83], v[64:65], v[82:83]
	v_fmac_f64_e32 v[72:73], v[64:65], v[80:81]
	s_waitcnt vmcnt(6)
	v_mul_f64 v[64:65], v[8:9], v[102:103]
	v_fma_f64 v[64:65], v[6:7], v[100:101], -v[64:65]
	v_mul_f64 v[102:103], v[6:7], v[102:103]
	s_waitcnt vmcnt(4)
	v_mul_f64 v[6:7], v[34:35], v[110:111]
	v_fma_f64 v[62:63], v[62:63], v[80:81], -v[82:83]
	v_mul_f64 v[80:81], v[36:37], v[110:111]
	v_fmac_f64_e32 v[102:103], v[8:9], v[100:101]
	v_fmac_f64_e32 v[6:7], v[36:37], v[108:109]
	v_mul_f64 v[82:83], v[20:21], v[98:99]
	v_mul_f64 v[98:99], v[18:19], v[98:99]
	v_fma_f64 v[80:81], v[34:35], v[108:109], -v[80:81]
	v_add_f64 v[34:35], v[102:103], -v[6:7]
	s_waitcnt vmcnt(3)
	v_mul_f64 v[6:7], v[32:33], v[114:115]
	v_fmac_f64_e32 v[98:99], v[20:21], v[96:97]
	v_mul_f64 v[20:21], v[30:31], v[114:115]
	v_fma_f64 v[30:31], v[30:31], v[112:113], -v[6:7]
	v_fma_f64 v[82:83], v[18:19], v[96:97], -v[82:83]
	v_mul_lo_u32 v1, s10, v66
	v_mul_f64 v[66:67], v[50:51], v[78:79]
	v_mul_f64 v[78:79], v[52:53], v[78:79]
	v_fmac_f64_e32 v[66:67], v[52:53], v[76:77]
	v_fma_f64 v[50:51], v[50:51], v[76:77], -v[78:79]
	v_mul_f64 v[76:77], v[16:17], v[90:91]
	v_mul_f64 v[52:53], v[38:39], v[86:87]
	v_fma_f64 v[76:77], v[14:15], v[88:89], -v[76:77]
	v_mul_f64 v[14:15], v[14:15], v[90:91]
	v_mul_f64 v[78:79], v[12:13], v[94:95]
	v_mul_f64 v[96:97], v[28:29], v[106:107]
	v_mul_f64 v[106:107], v[26:27], v[106:107]
	v_fmac_f64_e32 v[52:53], v[40:41], v[84:85]
	v_fmac_f64_e32 v[14:15], v[16:17], v[88:89]
	;; [unrolled: 1-line block ×3, first 2 shown]
	v_fma_f64 v[78:79], v[10:11], v[92:93], -v[78:79]
	v_add_f64 v[52:53], v[4:5], -v[52:53]
	v_fma_f64 v[26:27], v[26:27], v[104:105], -v[96:97]
	v_fmac_f64_e32 v[20:21], v[32:33], v[112:113]
	v_add_f64 v[62:63], v[50:51], -v[62:63]
	v_fma_f64 v[32:33], v[4:5], 2.0, -v[52:53]
	v_add_f64 v[106:107], v[98:99], -v[106:107]
	v_add_f64 v[26:27], v[82:83], -v[26:27]
	v_fma_f64 v[90:91], v[102:103], 2.0, -v[34:35]
	s_mov_b32 s10, s4
	s_waitcnt vmcnt(2)
	v_mul_f64 v[6:7], v[56:57], v[24:25]
	v_mul_f64 v[18:19], v[54:55], v[24:25]
	v_fma_f64 v[6:7], v[54:55], v[22:23], -v[6:7]
	v_fmac_f64_e32 v[18:19], v[56:57], v[22:23]
	v_add_f64 v[22:23], v[30:31], -v[6:7]
	v_mul_f64 v[6:7], v[40:41], v[86:87]
	v_fma_f64 v[6:7], v[38:39], v[84:85], -v[6:7]
	v_add_f64 v[24:25], v[2:3], -v[6:7]
	v_mul_f64 v[6:7], v[10:11], v[94:95]
	v_fmac_f64_e32 v[6:7], v[12:13], v[92:93]
	s_waitcnt vmcnt(1)
	v_mul_f64 v[28:29], v[46:47], v[44:45]
	v_mul_f64 v[44:45], v[48:49], v[44:45]
	v_add_f64 v[10:11], v[14:15], -v[6:7]
	s_waitcnt vmcnt(0) lgkmcnt(0)
	v_mul_f64 v[96:97], v[58:59], v[70:71]
	v_mul_f64 v[70:71], v[60:61], v[70:71]
	v_fmac_f64_e32 v[28:29], v[48:49], v[42:43]
	v_fma_f64 v[42:43], v[46:47], v[42:43], -v[44:45]
	v_add_f64 v[46:47], v[116:117], -v[120:121]
	v_fma_f64 v[4:5], v[14:15], 2.0, -v[10:11]
	v_fmac_f64_e32 v[96:97], v[60:61], v[68:69]
	v_fma_f64 v[44:45], v[58:59], v[68:69], -v[70:71]
	v_add_f64 v[68:69], v[64:65], -v[80:81]
	v_add_f64 v[14:15], v[32:33], -v[4:5]
	v_fma_f64 v[38:39], v[116:117], 2.0, -v[46:47]
	v_fma_f64 v[4:5], v[50:51], 2.0, -v[62:63]
	v_add_f64 v[96:97], v[28:29], -v[96:97]
	v_add_f64 v[50:51], v[38:39], -v[4:5]
	v_fma_f64 v[64:65], v[64:65], 2.0, -v[68:69]
	v_fma_f64 v[4:5], v[30:31], 2.0, -v[22:23]
	v_add_f64 v[48:49], v[66:67], -v[72:73]
	v_add_f64 v[58:59], v[76:77], -v[78:79]
	;; [unrolled: 1-line block ×6, first 2 shown]
	v_fma_f64 v[86:87], v[98:99], 2.0, -v[106:107]
	v_fma_f64 v[4:5], v[28:29], 2.0, -v[96:97]
	v_add_f64 v[72:73], v[46:47], -v[48:49]
	v_add_f64 v[74:75], v[52:53], v[58:59]
	v_add_f64 v[78:79], v[60:61], v[62:63]
	v_add_f64 v[104:105], v[68:69], -v[70:71]
	v_add_f64 v[120:121], v[26:27], -v[96:97]
	v_add_f64 v[100:101], v[106:107], v[44:45]
	v_add_f64 v[36:37], v[34:35], v[22:23]
	v_add_f64 v[40:41], v[24:25], -v[10:11]
	v_add_f64 v[28:29], v[86:87], -v[4:5]
	v_fma_f64 v[4:5], v[20:21], 2.0, -v[70:71]
	v_fma_f64 v[30:31], v[82:83], 2.0, -v[26:27]
	v_fma_f64 v[82:83], v[2:3], 2.0, -v[24:25]
	v_fma_f64 v[2:3], v[76:77], 2.0, -v[58:59]
	v_fma_f64 v[80:81], s[0:1], v[78:79], v[74:75]
	v_fma_f64 v[122:123], s[0:1], v[120:121], v[104:105]
	;; [unrolled: 1-line block ×4, first 2 shown]
	v_add_f64 v[70:71], v[90:91], -v[4:5]
	v_fma_f64 v[4:5], v[42:43], 2.0, -v[44:45]
	v_add_f64 v[58:59], v[82:83], -v[2:3]
	v_fma_f64 v[76:77], v[118:119], 2.0, -v[60:61]
	v_fma_f64 v[2:3], v[66:67], 2.0, -v[48:49]
	;; [unrolled: 1-line block ×4, first 2 shown]
	v_fmac_f64_e32 v[80:81], s[0:1], v[72:73]
	v_fmac_f64_e32 v[122:123], s[2:3], v[100:101]
	;; [unrolled: 1-line block ×4, first 2 shown]
	v_add_f64 v[42:43], v[30:31], -v[4:5]
	v_add_f64 v[48:49], v[76:77], -v[2:3]
	v_fma_f64 v[52:53], v[52:53], 2.0, -v[74:75]
	v_fma_f64 v[46:47], v[60:61], 2.0, -v[78:79]
	v_fma_f64 v[96:97], s[2:3], v[10:11], v[94:95]
	v_fma_f64 v[6:7], s[12:13], v[122:123], v[56:57]
	v_add_f64 v[62:63], v[14:15], v[50:51]
	v_add_f64 v[44:45], v[70:71], v[42:43]
	v_add_f64 v[66:67], v[58:59], -v[48:49]
	v_fma_f64 v[60:61], s[2:3], v[46:47], v[52:53]
	v_fmac_f64_e32 v[96:97], s[2:3], v[46:47]
	v_fma_f64 v[98:99], v[32:33], 2.0, -v[14:15]
	v_fma_f64 v[32:33], v[76:77], 2.0, -v[48:49]
	;; [unrolled: 1-line block ×7, first 2 shown]
	v_fma_f64 v[8:9], s[12:13], v[54:55], v[80:81]
	v_fmac_f64_e32 v[6:7], s[10:11], v[54:55]
	v_add_f64 v[88:89], v[84:85], -v[28:29]
	v_fma_f64 v[78:79], v[34:35], 2.0, -v[36:37]
	v_add_f64 v[76:77], v[98:99], -v[32:33]
	v_fma_f64 v[32:33], v[38:39], 2.0, -v[50:51]
	v_fma_f64 v[38:39], s[10:11], v[48:49], v[42:43]
	v_fma_f64 v[36:37], s[10:11], v[46:47], v[40:41]
	v_fma_f64 v[14:15], v[14:15], 2.0, -v[62:63]
	v_fma_f64 v[54:55], v[70:71], 2.0, -v[44:45]
	v_fmac_f64_e32 v[38:39], s[12:13], v[46:47]
	v_fmac_f64_e32 v[36:37], s[14:15], v[48:49]
	v_fma_f64 v[48:49], v[84:85], 2.0, -v[88:89]
	v_fma_f64 v[46:47], s[2:3], v[54:55], v[14:15]
	v_fmac_f64_e32 v[46:47], s[0:1], v[48:49]
	v_fma_f64 v[2:3], s[0:1], v[88:89], v[66:67]
	v_fma_f64 v[12:13], v[26:27], 2.0, -v[120:121]
	v_fma_f64 v[26:27], v[106:107], 2.0, -v[100:101]
	;; [unrolled: 1-line block ×4, first 2 shown]
	v_fma_f64 v[4:5], s[0:1], v[44:45], v[62:63]
	v_fmac_f64_e32 v[2:3], s[2:3], v[44:45]
	v_fma_f64 v[68:69], v[68:69], 2.0, -v[104:105]
	v_fma_f64 v[92:93], s[2:3], v[26:27], v[78:79]
	v_fma_f64 v[44:45], s[2:3], v[48:49], v[14:15]
	v_fmac_f64_e32 v[60:61], s[0:1], v[10:11]
	v_fma_f64 v[72:73], s[2:3], v[12:13], v[68:69]
	v_fmac_f64_e32 v[92:93], s[0:1], v[12:13]
	v_fmac_f64_e32 v[44:45], s[2:3], v[54:55]
	v_fma_f64 v[16:17], v[56:57], 2.0, -v[6:7]
	v_fmac_f64_e32 v[72:73], s[2:3], v[26:27]
	v_fma_f64 v[48:49], v[14:15], 2.0, -v[44:45]
	v_fma_f64 v[14:15], v[52:53], 2.0, -v[60:61]
	;; [unrolled: 1-line block ×4, first 2 shown]
	v_fma_f64 v[54:55], s[14:15], v[56:57], v[14:15]
	v_fmac_f64_e32 v[54:55], s[4:5], v[52:53]
	v_fma_f64 v[82:83], v[82:83], 2.0, -v[58:59]
	v_fma_f64 v[58:59], v[14:15], 2.0, -v[54:55]
	;; [unrolled: 1-line block ×3, first 2 shown]
	v_fma_f64 v[12:13], s[4:5], v[92:93], v[60:61]
	v_fma_f64 v[90:91], v[90:91], 2.0, -v[70:71]
	v_fma_f64 v[28:29], v[86:87], 2.0, -v[28:29]
	v_fma_f64 v[52:53], s[14:15], v[52:53], v[14:15]
	v_fmac_f64_e32 v[12:13], s[12:13], v[72:73]
	v_add_f64 v[86:87], v[90:91], -v[28:29]
	v_fmac_f64_e32 v[52:53], s[10:11], v[56:57]
	v_fmac_f64_e32 v[4:5], s[0:1], v[88:89]
	v_fma_f64 v[26:27], v[60:61], 2.0, -v[12:13]
	v_fma_f64 v[64:65], v[64:65], 2.0, -v[84:85]
	;; [unrolled: 1-line block ×6, first 2 shown]
	v_add_f64 v[100:101], v[64:65], -v[30:31]
	v_add_f64 v[62:63], v[14:15], -v[60:61]
	v_fma_f64 v[20:21], v[66:67], 2.0, -v[2:3]
	v_add_f64 v[102:103], v[82:83], -v[32:33]
	v_fma_f64 v[60:61], v[64:65], 2.0, -v[100:101]
	v_mul_lo_u32 v64, s8, v0
	v_fma_f64 v[66:67], v[14:15], 2.0, -v[62:63]
	v_add_u32_e32 v14, 13, v0
	v_fma_f64 v[68:69], v[82:83], 2.0, -v[102:103]
	v_add3_u32 v70, v1, v64, s9
	v_mov_b32_e32 v71, 0
	v_mul_lo_u32 v14, s8, v14
	v_fma_f64 v[10:11], s[4:5], v[72:73], v[96:97]
	v_add_f64 v[60:61], v[68:69], -v[60:61]
	v_lshl_add_u64 v[72:73], v[70:71], 4, s[6:7]
	v_add3_u32 v70, v1, v14, s9
	v_fma_f64 v[64:65], v[68:69], 2.0, -v[60:61]
	v_lshl_add_u64 v[14:15], v[70:71], 4, s[6:7]
	global_store_dwordx4 v[72:73], v[64:67], off
	global_store_dwordx4 v[14:15], v[56:59], off
	v_add_u32_e32 v14, 26, v0
	v_mul_lo_u32 v14, s8, v14
	v_add3_u32 v70, v1, v14, s9
	v_lshl_add_u64 v[14:15], v[70:71], 4, s[6:7]
	global_store_dwordx4 v[14:15], v[48:51], off
	v_add_u32_e32 v14, 39, v0
	v_mul_lo_u32 v14, s8, v14
	v_add3_u32 v70, v1, v14, s9
	v_fma_f64 v[42:43], v[42:43], 2.0, -v[38:39]
	v_fma_f64 v[40:41], v[40:41], 2.0, -v[36:37]
	v_lshl_add_u64 v[14:15], v[70:71], 4, s[6:7]
	global_store_dwordx4 v[14:15], v[40:43], off
	v_add_u32_e32 v14, 52, v0
	v_mul_lo_u32 v14, s8, v14
	v_add_f64 v[30:31], v[76:77], v[100:101]
	v_add_f64 v[28:29], v[102:103], -v[86:87]
	v_add3_u32 v70, v1, v14, s9
	v_fma_f64 v[34:35], v[76:77], 2.0, -v[30:31]
	v_fma_f64 v[32:33], v[102:103], 2.0, -v[28:29]
	v_lshl_add_u64 v[14:15], v[70:71], 4, s[6:7]
	global_store_dwordx4 v[14:15], v[32:35], off
	v_add_u32_e32 v14, 0x41, v0
	v_mul_lo_u32 v14, s8, v14
	v_fmac_f64_e32 v[10:11], s[14:15], v[92:93]
	v_add3_u32 v70, v1, v14, s9
	v_fma_f64 v[24:25], v[96:97], 2.0, -v[10:11]
	v_lshl_add_u64 v[14:15], v[70:71], 4, s[6:7]
	global_store_dwordx4 v[14:15], v[24:27], off
	v_add_u32_e32 v14, 0x4e, v0
	v_mul_lo_u32 v14, s8, v14
	v_add3_u32 v70, v1, v14, s9
	v_lshl_add_u64 v[14:15], v[70:71], 4, s[6:7]
	global_store_dwordx4 v[14:15], v[20:23], off
	v_add_u32_e32 v14, 0x5b, v0
	v_mul_lo_u32 v14, s8, v14
	v_fmac_f64_e32 v[8:9], s[4:5], v[122:123]
	v_add3_u32 v70, v1, v14, s9
	v_fma_f64 v[18:19], v[80:81], 2.0, -v[8:9]
	v_lshl_add_u64 v[14:15], v[70:71], 4, s[6:7]
	global_store_dwordx4 v[14:15], v[16:19], off
	v_add_u32_e32 v14, 0x68, v0
	v_mul_lo_u32 v14, s8, v14
	v_add3_u32 v70, v1, v14, s9
	v_lshl_add_u64 v[14:15], v[70:71], 4, s[6:7]
	global_store_dwordx4 v[14:15], v[60:63], off
	v_add_u32_e32 v14, 0x75, v0
	v_mul_lo_u32 v14, s8, v14
	v_add3_u32 v70, v1, v14, s9
	;; [unrolled: 5-line block ×6, first 2 shown]
	v_lshl_add_u64 v[14:15], v[70:71], 4, s[6:7]
	global_store_dwordx4 v[14:15], v[10:13], off
	s_nop 1
	v_add_u32_e32 v10, 0xb6, v0
	v_mul_lo_u32 v10, s8, v10
	v_add_u32_e32 v0, 0xc3, v0
	v_add3_u32 v70, v1, v10, s9
	v_mul_lo_u32 v0, s8, v0
	v_lshl_add_u64 v[10:11], v[70:71], 4, s[6:7]
	v_add3_u32 v70, v1, v0, s9
	v_lshl_add_u64 v[0:1], v[70:71], 4, s[6:7]
	global_store_dwordx4 v[10:11], v[2:5], off
	global_store_dwordx4 v[0:1], v[6:9], off
.LBB0_42:
	s_endpgm
	.section	.rodata,"a",@progbits
	.p2align	6, 0x0
	.amdhsa_kernel fft_rtc_fwd_len208_factors_13_16_wgs_144_tpt_16_dp_op_CI_CI_sbcc_dirReg_intrinsicReadWrite
		.amdhsa_group_segment_fixed_size 0
		.amdhsa_private_segment_fixed_size 0
		.amdhsa_kernarg_size 112
		.amdhsa_user_sgpr_count 2
		.amdhsa_user_sgpr_dispatch_ptr 0
		.amdhsa_user_sgpr_queue_ptr 0
		.amdhsa_user_sgpr_kernarg_segment_ptr 1
		.amdhsa_user_sgpr_dispatch_id 0
		.amdhsa_user_sgpr_kernarg_preload_length 0
		.amdhsa_user_sgpr_kernarg_preload_offset 0
		.amdhsa_user_sgpr_private_segment_size 0
		.amdhsa_uses_dynamic_stack 0
		.amdhsa_enable_private_segment 0
		.amdhsa_system_sgpr_workgroup_id_x 1
		.amdhsa_system_sgpr_workgroup_id_y 0
		.amdhsa_system_sgpr_workgroup_id_z 0
		.amdhsa_system_sgpr_workgroup_info 0
		.amdhsa_system_vgpr_workitem_id 0
		.amdhsa_next_free_vgpr 124
		.amdhsa_next_free_sgpr 52
		.amdhsa_accum_offset 124
		.amdhsa_reserve_vcc 1
		.amdhsa_float_round_mode_32 0
		.amdhsa_float_round_mode_16_64 0
		.amdhsa_float_denorm_mode_32 3
		.amdhsa_float_denorm_mode_16_64 3
		.amdhsa_dx10_clamp 1
		.amdhsa_ieee_mode 1
		.amdhsa_fp16_overflow 0
		.amdhsa_tg_split 0
		.amdhsa_exception_fp_ieee_invalid_op 0
		.amdhsa_exception_fp_denorm_src 0
		.amdhsa_exception_fp_ieee_div_zero 0
		.amdhsa_exception_fp_ieee_overflow 0
		.amdhsa_exception_fp_ieee_underflow 0
		.amdhsa_exception_fp_ieee_inexact 0
		.amdhsa_exception_int_div_zero 0
	.end_amdhsa_kernel
	.text
.Lfunc_end0:
	.size	fft_rtc_fwd_len208_factors_13_16_wgs_144_tpt_16_dp_op_CI_CI_sbcc_dirReg_intrinsicReadWrite, .Lfunc_end0-fft_rtc_fwd_len208_factors_13_16_wgs_144_tpt_16_dp_op_CI_CI_sbcc_dirReg_intrinsicReadWrite
                                        ; -- End function
	.section	.AMDGPU.csdata,"",@progbits
; Kernel info:
; codeLenInByte = 8724
; NumSgprs: 58
; NumVgprs: 124
; NumAgprs: 0
; TotalNumVgprs: 124
; ScratchSize: 0
; MemoryBound: 0
; FloatMode: 240
; IeeeMode: 1
; LDSByteSize: 0 bytes/workgroup (compile time only)
; SGPRBlocks: 7
; VGPRBlocks: 15
; NumSGPRsForWavesPerEU: 58
; NumVGPRsForWavesPerEU: 124
; AccumOffset: 124
; Occupancy: 4
; WaveLimiterHint : 1
; COMPUTE_PGM_RSRC2:SCRATCH_EN: 0
; COMPUTE_PGM_RSRC2:USER_SGPR: 2
; COMPUTE_PGM_RSRC2:TRAP_HANDLER: 0
; COMPUTE_PGM_RSRC2:TGID_X_EN: 1
; COMPUTE_PGM_RSRC2:TGID_Y_EN: 0
; COMPUTE_PGM_RSRC2:TGID_Z_EN: 0
; COMPUTE_PGM_RSRC2:TIDIG_COMP_CNT: 0
; COMPUTE_PGM_RSRC3_GFX90A:ACCUM_OFFSET: 30
; COMPUTE_PGM_RSRC3_GFX90A:TG_SPLIT: 0
	.text
	.p2alignl 6, 3212836864
	.fill 256, 4, 3212836864
	.type	__hip_cuid_591cf5c3c427326f,@object ; @__hip_cuid_591cf5c3c427326f
	.section	.bss,"aw",@nobits
	.globl	__hip_cuid_591cf5c3c427326f
__hip_cuid_591cf5c3c427326f:
	.byte	0                               ; 0x0
	.size	__hip_cuid_591cf5c3c427326f, 1

	.ident	"AMD clang version 19.0.0git (https://github.com/RadeonOpenCompute/llvm-project roc-6.4.0 25133 c7fe45cf4b819c5991fe208aaa96edf142730f1d)"
	.section	".note.GNU-stack","",@progbits
	.addrsig
	.addrsig_sym __hip_cuid_591cf5c3c427326f
	.amdgpu_metadata
---
amdhsa.kernels:
  - .agpr_count:     0
    .args:
      - .actual_access:  read_only
        .address_space:  global
        .offset:         0
        .size:           8
        .value_kind:     global_buffer
      - .address_space:  global
        .offset:         8
        .size:           8
        .value_kind:     global_buffer
      - .offset:         16
        .size:           8
        .value_kind:     by_value
      - .actual_access:  read_only
        .address_space:  global
        .offset:         24
        .size:           8
        .value_kind:     global_buffer
      - .actual_access:  read_only
        .address_space:  global
        .offset:         32
        .size:           8
        .value_kind:     global_buffer
      - .actual_access:  read_only
        .address_space:  global
        .offset:         40
        .size:           8
        .value_kind:     global_buffer
      - .offset:         48
        .size:           8
        .value_kind:     by_value
      - .actual_access:  read_only
        .address_space:  global
        .offset:         56
        .size:           8
        .value_kind:     global_buffer
      - .actual_access:  read_only
        .address_space:  global
        .offset:         64
        .size:           8
        .value_kind:     global_buffer
      - .offset:         72
        .size:           4
        .value_kind:     by_value
      - .actual_access:  read_only
        .address_space:  global
        .offset:         80
        .size:           8
        .value_kind:     global_buffer
      - .actual_access:  read_only
        .address_space:  global
        .offset:         88
        .size:           8
        .value_kind:     global_buffer
      - .actual_access:  read_only
        .address_space:  global
        .offset:         96
        .size:           8
        .value_kind:     global_buffer
      - .actual_access:  write_only
        .address_space:  global
        .offset:         104
        .size:           8
        .value_kind:     global_buffer
    .group_segment_fixed_size: 0
    .kernarg_segment_align: 8
    .kernarg_segment_size: 112
    .language:       OpenCL C
    .language_version:
      - 2
      - 0
    .max_flat_workgroup_size: 144
    .name:           fft_rtc_fwd_len208_factors_13_16_wgs_144_tpt_16_dp_op_CI_CI_sbcc_dirReg_intrinsicReadWrite
    .private_segment_fixed_size: 0
    .sgpr_count:     58
    .sgpr_spill_count: 0
    .symbol:         fft_rtc_fwd_len208_factors_13_16_wgs_144_tpt_16_dp_op_CI_CI_sbcc_dirReg_intrinsicReadWrite.kd
    .uniform_work_group_size: 1
    .uses_dynamic_stack: false
    .vgpr_count:     124
    .vgpr_spill_count: 0
    .wavefront_size: 64
amdhsa.target:   amdgcn-amd-amdhsa--gfx950
amdhsa.version:
  - 1
  - 2
...

	.end_amdgpu_metadata
